;; amdgpu-corpus repo=ROCm/rocFFT kind=compiled arch=gfx1201 opt=O3
	.text
	.amdgcn_target "amdgcn-amd-amdhsa--gfx1201"
	.amdhsa_code_object_version 6
	.protected	fft_rtc_back_len726_factors_11_6_11_wgs_132_tpt_66_half_ip_CI_unitstride_sbrr_R2C_dirReg ; -- Begin function fft_rtc_back_len726_factors_11_6_11_wgs_132_tpt_66_half_ip_CI_unitstride_sbrr_R2C_dirReg
	.globl	fft_rtc_back_len726_factors_11_6_11_wgs_132_tpt_66_half_ip_CI_unitstride_sbrr_R2C_dirReg
	.p2align	8
	.type	fft_rtc_back_len726_factors_11_6_11_wgs_132_tpt_66_half_ip_CI_unitstride_sbrr_R2C_dirReg,@function
fft_rtc_back_len726_factors_11_6_11_wgs_132_tpt_66_half_ip_CI_unitstride_sbrr_R2C_dirReg: ; @fft_rtc_back_len726_factors_11_6_11_wgs_132_tpt_66_half_ip_CI_unitstride_sbrr_R2C_dirReg
; %bb.0:
	s_clause 0x2
	s_load_b128 s[4:7], s[0:1], 0x0
	s_load_b64 s[8:9], s[0:1], 0x50
	s_load_b64 s[10:11], s[0:1], 0x18
	v_mul_u32_u24_e32 v1, 0x3e1, v0
	v_mov_b32_e32 v3, 0
	s_delay_alu instid0(VALU_DEP_2) | instskip(SKIP_2) | instid1(VALU_DEP_4)
	v_lshrrev_b32_e32 v7, 16, v1
	v_mov_b32_e32 v1, 0
	v_mov_b32_e32 v2, 0
	;; [unrolled: 1-line block ×3, first 2 shown]
	s_delay_alu instid0(VALU_DEP_4) | instskip(SKIP_2) | instid1(VALU_DEP_1)
	v_lshl_add_u32 v5, ttmp9, 1, v7
	s_wait_kmcnt 0x0
	v_cmp_lt_u64_e64 s2, s[6:7], 2
	s_and_b32 vcc_lo, exec_lo, s2
	s_cbranch_vccnz .LBB0_8
; %bb.1:
	s_load_b64 s[2:3], s[0:1], 0x10
	v_mov_b32_e32 v1, 0
	v_mov_b32_e32 v2, 0
	s_add_nc_u64 s[12:13], s[10:11], 8
	s_mov_b64 s[14:15], 1
	s_wait_kmcnt 0x0
	s_add_nc_u64 s[16:17], s[2:3], 8
	s_mov_b32 s3, 0
.LBB0_2:                                ; =>This Inner Loop Header: Depth=1
	s_load_b64 s[18:19], s[16:17], 0x0
                                        ; implicit-def: $vgpr9_vgpr10
	s_mov_b32 s2, exec_lo
	s_wait_kmcnt 0x0
	v_or_b32_e32 v4, s19, v6
	s_delay_alu instid0(VALU_DEP_1)
	v_cmpx_ne_u64_e32 0, v[3:4]
	s_wait_alu 0xfffe
	s_xor_b32 s20, exec_lo, s2
	s_cbranch_execz .LBB0_4
; %bb.3:                                ;   in Loop: Header=BB0_2 Depth=1
	s_cvt_f32_u32 s2, s18
	s_cvt_f32_u32 s21, s19
	s_sub_nc_u64 s[24:25], 0, s[18:19]
	s_wait_alu 0xfffe
	s_delay_alu instid0(SALU_CYCLE_1) | instskip(SKIP_1) | instid1(SALU_CYCLE_2)
	s_fmamk_f32 s2, s21, 0x4f800000, s2
	s_wait_alu 0xfffe
	v_s_rcp_f32 s2, s2
	s_delay_alu instid0(TRANS32_DEP_1) | instskip(SKIP_1) | instid1(SALU_CYCLE_2)
	s_mul_f32 s2, s2, 0x5f7ffffc
	s_wait_alu 0xfffe
	s_mul_f32 s21, s2, 0x2f800000
	s_wait_alu 0xfffe
	s_delay_alu instid0(SALU_CYCLE_2) | instskip(SKIP_1) | instid1(SALU_CYCLE_2)
	s_trunc_f32 s21, s21
	s_wait_alu 0xfffe
	s_fmamk_f32 s2, s21, 0xcf800000, s2
	s_cvt_u32_f32 s23, s21
	s_wait_alu 0xfffe
	s_delay_alu instid0(SALU_CYCLE_1) | instskip(SKIP_1) | instid1(SALU_CYCLE_2)
	s_cvt_u32_f32 s22, s2
	s_wait_alu 0xfffe
	s_mul_u64 s[26:27], s[24:25], s[22:23]
	s_wait_alu 0xfffe
	s_mul_hi_u32 s29, s22, s27
	s_mul_i32 s28, s22, s27
	s_mul_hi_u32 s2, s22, s26
	s_mul_i32 s30, s23, s26
	s_wait_alu 0xfffe
	s_add_nc_u64 s[28:29], s[2:3], s[28:29]
	s_mul_hi_u32 s21, s23, s26
	s_mul_hi_u32 s31, s23, s27
	s_add_co_u32 s2, s28, s30
	s_wait_alu 0xfffe
	s_add_co_ci_u32 s2, s29, s21
	s_mul_i32 s26, s23, s27
	s_add_co_ci_u32 s27, s31, 0
	s_wait_alu 0xfffe
	s_add_nc_u64 s[26:27], s[2:3], s[26:27]
	s_wait_alu 0xfffe
	v_add_co_u32 v4, s2, s22, s26
	s_delay_alu instid0(VALU_DEP_1) | instskip(SKIP_1) | instid1(VALU_DEP_1)
	s_cmp_lg_u32 s2, 0
	s_add_co_ci_u32 s23, s23, s27
	v_readfirstlane_b32 s22, v4
	s_wait_alu 0xfffe
	s_delay_alu instid0(VALU_DEP_1)
	s_mul_u64 s[24:25], s[24:25], s[22:23]
	s_wait_alu 0xfffe
	s_mul_hi_u32 s27, s22, s25
	s_mul_i32 s26, s22, s25
	s_mul_hi_u32 s2, s22, s24
	s_mul_i32 s28, s23, s24
	s_wait_alu 0xfffe
	s_add_nc_u64 s[26:27], s[2:3], s[26:27]
	s_mul_hi_u32 s21, s23, s24
	s_mul_hi_u32 s22, s23, s25
	s_wait_alu 0xfffe
	s_add_co_u32 s2, s26, s28
	s_add_co_ci_u32 s2, s27, s21
	s_mul_i32 s24, s23, s25
	s_add_co_ci_u32 s25, s22, 0
	s_wait_alu 0xfffe
	s_add_nc_u64 s[24:25], s[2:3], s[24:25]
	s_wait_alu 0xfffe
	v_add_co_u32 v4, s2, v4, s24
	s_delay_alu instid0(VALU_DEP_1) | instskip(SKIP_1) | instid1(VALU_DEP_1)
	s_cmp_lg_u32 s2, 0
	s_add_co_ci_u32 s2, s23, s25
	v_mul_hi_u32 v14, v5, v4
	s_wait_alu 0xfffe
	v_mad_co_u64_u32 v[8:9], null, v5, s2, 0
	v_mad_co_u64_u32 v[10:11], null, v6, v4, 0
	;; [unrolled: 1-line block ×3, first 2 shown]
	s_delay_alu instid0(VALU_DEP_3) | instskip(SKIP_1) | instid1(VALU_DEP_4)
	v_add_co_u32 v4, vcc_lo, v14, v8
	s_wait_alu 0xfffd
	v_add_co_ci_u32_e32 v8, vcc_lo, 0, v9, vcc_lo
	s_delay_alu instid0(VALU_DEP_2) | instskip(SKIP_1) | instid1(VALU_DEP_2)
	v_add_co_u32 v4, vcc_lo, v4, v10
	s_wait_alu 0xfffd
	v_add_co_ci_u32_e32 v4, vcc_lo, v8, v11, vcc_lo
	s_wait_alu 0xfffd
	v_add_co_ci_u32_e32 v8, vcc_lo, 0, v13, vcc_lo
	s_delay_alu instid0(VALU_DEP_2) | instskip(SKIP_1) | instid1(VALU_DEP_2)
	v_add_co_u32 v4, vcc_lo, v4, v12
	s_wait_alu 0xfffd
	v_add_co_ci_u32_e32 v10, vcc_lo, 0, v8, vcc_lo
	s_delay_alu instid0(VALU_DEP_2) | instskip(SKIP_1) | instid1(VALU_DEP_3)
	v_mul_lo_u32 v11, s19, v4
	v_mad_co_u64_u32 v[8:9], null, s18, v4, 0
	v_mul_lo_u32 v12, s18, v10
	s_delay_alu instid0(VALU_DEP_2) | instskip(NEXT) | instid1(VALU_DEP_2)
	v_sub_co_u32 v8, vcc_lo, v5, v8
	v_add3_u32 v9, v9, v12, v11
	s_delay_alu instid0(VALU_DEP_1) | instskip(SKIP_1) | instid1(VALU_DEP_1)
	v_sub_nc_u32_e32 v11, v6, v9
	s_wait_alu 0xfffd
	v_subrev_co_ci_u32_e64 v11, s2, s19, v11, vcc_lo
	v_add_co_u32 v12, s2, v4, 2
	s_wait_alu 0xf1ff
	v_add_co_ci_u32_e64 v13, s2, 0, v10, s2
	v_sub_co_u32 v14, s2, v8, s18
	v_sub_co_ci_u32_e32 v9, vcc_lo, v6, v9, vcc_lo
	s_wait_alu 0xf1ff
	v_subrev_co_ci_u32_e64 v11, s2, 0, v11, s2
	s_delay_alu instid0(VALU_DEP_3) | instskip(NEXT) | instid1(VALU_DEP_3)
	v_cmp_le_u32_e32 vcc_lo, s18, v14
	v_cmp_eq_u32_e64 s2, s19, v9
	s_wait_alu 0xfffd
	v_cndmask_b32_e64 v14, 0, -1, vcc_lo
	v_cmp_le_u32_e32 vcc_lo, s19, v11
	s_wait_alu 0xfffd
	v_cndmask_b32_e64 v15, 0, -1, vcc_lo
	v_cmp_le_u32_e32 vcc_lo, s18, v8
	;; [unrolled: 3-line block ×3, first 2 shown]
	s_wait_alu 0xfffd
	v_cndmask_b32_e64 v16, 0, -1, vcc_lo
	v_cmp_eq_u32_e32 vcc_lo, s19, v11
	s_wait_alu 0xf1ff
	s_delay_alu instid0(VALU_DEP_2)
	v_cndmask_b32_e64 v8, v16, v8, s2
	s_wait_alu 0xfffd
	v_cndmask_b32_e32 v11, v15, v14, vcc_lo
	v_add_co_u32 v14, vcc_lo, v4, 1
	s_wait_alu 0xfffd
	v_add_co_ci_u32_e32 v15, vcc_lo, 0, v10, vcc_lo
	s_delay_alu instid0(VALU_DEP_3) | instskip(SKIP_1) | instid1(VALU_DEP_2)
	v_cmp_ne_u32_e32 vcc_lo, 0, v11
	s_wait_alu 0xfffd
	v_cndmask_b32_e32 v9, v15, v13, vcc_lo
	v_cndmask_b32_e32 v11, v14, v12, vcc_lo
	v_cmp_ne_u32_e32 vcc_lo, 0, v8
	s_wait_alu 0xfffd
	s_delay_alu instid0(VALU_DEP_2)
	v_dual_cndmask_b32 v10, v10, v9 :: v_dual_cndmask_b32 v9, v4, v11
.LBB0_4:                                ;   in Loop: Header=BB0_2 Depth=1
	s_wait_alu 0xfffe
	s_and_not1_saveexec_b32 s2, s20
	s_cbranch_execz .LBB0_6
; %bb.5:                                ;   in Loop: Header=BB0_2 Depth=1
	v_cvt_f32_u32_e32 v4, s18
	s_sub_co_i32 s20, 0, s18
	s_delay_alu instid0(VALU_DEP_1) | instskip(NEXT) | instid1(TRANS32_DEP_1)
	v_rcp_iflag_f32_e32 v4, v4
	v_mul_f32_e32 v4, 0x4f7ffffe, v4
	s_delay_alu instid0(VALU_DEP_1) | instskip(SKIP_1) | instid1(VALU_DEP_1)
	v_cvt_u32_f32_e32 v4, v4
	s_wait_alu 0xfffe
	v_mul_lo_u32 v8, s20, v4
	s_delay_alu instid0(VALU_DEP_1) | instskip(NEXT) | instid1(VALU_DEP_1)
	v_mul_hi_u32 v8, v4, v8
	v_add_nc_u32_e32 v4, v4, v8
	s_delay_alu instid0(VALU_DEP_1) | instskip(NEXT) | instid1(VALU_DEP_1)
	v_mul_hi_u32 v4, v5, v4
	v_mul_lo_u32 v8, v4, s18
	s_delay_alu instid0(VALU_DEP_1) | instskip(NEXT) | instid1(VALU_DEP_1)
	v_sub_nc_u32_e32 v8, v5, v8
	v_subrev_nc_u32_e32 v10, s18, v8
	v_cmp_le_u32_e32 vcc_lo, s18, v8
	s_wait_alu 0xfffd
	s_delay_alu instid0(VALU_DEP_2) | instskip(NEXT) | instid1(VALU_DEP_1)
	v_dual_cndmask_b32 v8, v8, v10 :: v_dual_add_nc_u32 v9, 1, v4
	v_cndmask_b32_e32 v4, v4, v9, vcc_lo
	v_mov_b32_e32 v10, v3
	s_delay_alu instid0(VALU_DEP_3) | instskip(NEXT) | instid1(VALU_DEP_3)
	v_cmp_le_u32_e32 vcc_lo, s18, v8
	v_add_nc_u32_e32 v9, 1, v4
	s_wait_alu 0xfffd
	s_delay_alu instid0(VALU_DEP_1)
	v_cndmask_b32_e32 v9, v4, v9, vcc_lo
.LBB0_6:                                ;   in Loop: Header=BB0_2 Depth=1
	s_wait_alu 0xfffe
	s_or_b32 exec_lo, exec_lo, s2
	s_load_b64 s[20:21], s[12:13], 0x0
	v_mul_lo_u32 v4, v10, s18
	v_mul_lo_u32 v8, v9, s19
	v_mad_co_u64_u32 v[11:12], null, v9, s18, 0
	s_add_nc_u64 s[14:15], s[14:15], 1
	s_add_nc_u64 s[12:13], s[12:13], 8
	s_wait_alu 0xfffe
	v_cmp_ge_u64_e64 s2, s[14:15], s[6:7]
	s_add_nc_u64 s[16:17], s[16:17], 8
	s_delay_alu instid0(VALU_DEP_2) | instskip(NEXT) | instid1(VALU_DEP_3)
	v_add3_u32 v4, v12, v8, v4
	v_sub_co_u32 v5, vcc_lo, v5, v11
	s_wait_alu 0xfffd
	s_delay_alu instid0(VALU_DEP_2) | instskip(SKIP_3) | instid1(VALU_DEP_2)
	v_sub_co_ci_u32_e32 v4, vcc_lo, v6, v4, vcc_lo
	s_and_b32 vcc_lo, exec_lo, s2
	s_wait_kmcnt 0x0
	v_mul_lo_u32 v6, s21, v5
	v_mul_lo_u32 v4, s20, v4
	v_mad_co_u64_u32 v[1:2], null, s20, v5, v[1:2]
	s_delay_alu instid0(VALU_DEP_1)
	v_add3_u32 v2, v6, v2, v4
	s_wait_alu 0xfffe
	s_cbranch_vccnz .LBB0_9
; %bb.7:                                ;   in Loop: Header=BB0_2 Depth=1
	v_dual_mov_b32 v5, v9 :: v_dual_mov_b32 v6, v10
	s_branch .LBB0_2
.LBB0_8:
	v_dual_mov_b32 v10, v6 :: v_dual_mov_b32 v9, v5
.LBB0_9:
	s_lshl_b64 s[2:3], s[6:7], 3
	v_mul_hi_u32 v3, 0x3e0f83f, v0
	s_wait_alu 0xfffe
	s_add_nc_u64 s[2:3], s[10:11], s[2:3]
	v_and_b32_e32 v6, 1, v7
	s_load_b64 s[2:3], s[2:3], 0x0
	s_load_b64 s[6:7], s[0:1], 0x20
	s_delay_alu instid0(VALU_DEP_1) | instskip(NEXT) | instid1(VALU_DEP_3)
	v_cmp_eq_u32_e64 s0, 1, v6
	v_mul_u32_u24_e32 v3, 0x42, v3
	s_delay_alu instid0(VALU_DEP_1) | instskip(NEXT) | instid1(VALU_DEP_1)
	v_sub_nc_u32_e32 v8, v0, v3
	v_add_nc_u32_e32 v12, 0x42, v8
	s_wait_kmcnt 0x0
	v_mul_lo_u32 v4, s2, v10
	v_mul_lo_u32 v5, s3, v9
	v_mad_co_u64_u32 v[1:2], null, s2, v9, v[1:2]
	v_cmp_gt_u64_e32 vcc_lo, s[6:7], v[9:10]
	v_cmp_le_u64_e64 s1, s[6:7], v[9:10]
	s_delay_alu instid0(VALU_DEP_3) | instskip(NEXT) | instid1(VALU_DEP_2)
	v_add3_u32 v2, v5, v2, v4
	s_and_saveexec_b32 s2, s1
	s_wait_alu 0xfffe
	s_xor_b32 s1, exec_lo, s2
; %bb.10:
	v_add_nc_u32_e32 v12, 0x42, v8
; %bb.11:
	s_wait_alu 0xfffe
	s_or_saveexec_b32 s1, s1
	v_cndmask_b32_e64 v0, 0, 0x2d7, s0
	v_lshlrev_b64_e32 v[10:11], 2, v[1:2]
	v_lshlrev_b32_e32 v25, 2, v8
	s_delay_alu instid0(VALU_DEP_3)
	v_lshlrev_b32_e32 v15, 2, v0
	s_wait_alu 0xfffe
	s_xor_b32 exec_lo, exec_lo, s1
	s_cbranch_execz .LBB0_13
; %bb.12:
	v_mov_b32_e32 v9, 0
	v_add_co_u32 v2, s0, s8, v10
	s_wait_alu 0xf1ff
	v_add_co_ci_u32_e64 v3, s0, s9, v11, s0
	s_delay_alu instid0(VALU_DEP_3) | instskip(NEXT) | instid1(VALU_DEP_1)
	v_lshlrev_b64_e32 v[0:1], 2, v[8:9]
	v_add_co_u32 v0, s0, v2, v0
	s_wait_alu 0xf1ff
	s_delay_alu instid0(VALU_DEP_2)
	v_add_co_ci_u32_e64 v1, s0, v3, v1, s0
	s_clause 0xa
	global_load_b32 v2, v[0:1], off
	global_load_b32 v3, v[0:1], off offset:264
	global_load_b32 v4, v[0:1], off offset:528
	;; [unrolled: 1-line block ×10, first 2 shown]
	v_add3_u32 v1, 0, v15, v25
	s_delay_alu instid0(VALU_DEP_1)
	v_add_nc_u32_e32 v18, 0x800, v1
	v_add_nc_u32_e32 v17, 0x400, v1
	s_wait_loadcnt 0x9
	ds_store_2addr_b32 v1, v2, v3 offset1:66
	s_wait_loadcnt 0x7
	ds_store_2addr_b32 v1, v4, v5 offset0:132 offset1:198
	s_wait_loadcnt 0x5
	ds_store_2addr_b32 v17, v6, v7 offset0:8 offset1:74
	;; [unrolled: 2-line block ×4, first 2 shown]
	s_wait_loadcnt 0x0
	ds_store_b32 v1, v0 offset:2640
.LBB0_13:
	s_or_b32 exec_lo, exec_lo, s1
	v_add_nc_u32_e32 v24, 0, v15
	v_add3_u32 v9, 0, v25, v15
	global_wb scope:SCOPE_SE
	s_wait_dscnt 0x0
	s_barrier_signal -1
	s_barrier_wait -1
	v_add_nc_u32_e32 v23, v24, v25
	v_add_nc_u32_e32 v2, 0x800, v9
	global_inv scope:SCOPE_SE
	v_add_nc_u32_e32 v13, 0x200, v9
	ds_load_2addr_b32 v[0:1], v9 offset0:66 offset1:132
	ds_load_b32 v16, v23
	ds_load_2addr_b32 v[2:3], v2 offset0:82 offset1:148
	v_add_nc_u32_e32 v21, 0x400, v9
	v_add_nc_u32_e32 v17, 0x600, v9
	v_mad_u32_u24 v22, v8, 40, v9
	ds_load_2addr_b32 v[4:5], v13 offset0:70 offset1:136
	ds_load_2addr_b32 v[6:7], v21 offset0:74 offset1:140
	;; [unrolled: 1-line block ×3, first 2 shown]
	global_wb scope:SCOPE_SE
	s_wait_dscnt 0x0
	s_barrier_signal -1
	s_barrier_wait -1
	global_inv scope:SCOPE_SE
	v_cmp_gt_u32_e64 s0, 55, v8
	v_pk_add_f16 v14, v16, v0
	v_pk_add_f16 v20, v3, v0
	v_pk_add_f16 v26, v0, v3 neg_lo:[0,1] neg_hi:[0,1]
	v_pk_add_f16 v28, v2, v1
	v_pk_add_f16 v29, v1, v2 neg_lo:[0,1] neg_hi:[0,1]
	v_pk_add_f16 v0, v14, v1
	v_lshrrev_b32_e32 v30, 16, v20
	v_pk_mul_f16 v1, 0xb853, v26 op_sel_hi:[0,1]
	v_lshrrev_b32_e32 v14, 16, v26
	v_pk_mul_f16 v31, 0xbb47, v29 op_sel_hi:[0,1]
	v_pk_add_f16 v0, v0, v4
	v_mul_f16_e32 v36, 0xb08e, v30
	v_pk_fma_f16 v33, 0x3abb, v20, v1 op_sel:[0,0,1] op_sel_hi:[0,1,0]
	v_pk_fma_f16 v1, 0x3abb, v20, v1 op_sel:[0,0,1] op_sel_hi:[0,1,0] neg_lo:[0,0,1] neg_hi:[0,0,1]
	v_mul_f16_e32 v34, 0xbb47, v14
	v_pk_add_f16 v0, v0, v5
	v_mul_f16_e32 v35, 0xbbeb, v14
	v_mul_f16_e32 v37, 0xba0c, v14
	;; [unrolled: 1-line block ×4, first 2 shown]
	v_pk_add_f16 v0, v0, v6
	v_lshrrev_b32_e32 v27, 16, v16
	v_lshrrev_b32_e32 v32, 16, v29
	v_pk_fma_f16 v38, 0x36a6, v28, v31 op_sel:[0,0,1] op_sel_hi:[0,1,0]
	v_pk_fma_f16 v31, 0x36a6, v28, v31 op_sel:[0,0,1] op_sel_hi:[0,1,0] neg_lo:[0,0,1] neg_hi:[0,0,1]
	v_pk_add_f16 v0, v0, v7
	v_bfi_b32 v39, 0xffff, v33, v1
	v_fmamk_f16 v43, v20, 0xb93d, v37
	v_fmamk_f16 v44, v26, 0x3a0c, v30
	;; [unrolled: 1-line block ×3, first 2 shown]
	v_pk_add_f16 v0, v0, v18
	v_fmamk_f16 v40, v20, 0x36a6, v34
	v_fma_f16 v34, v20, 0x36a6, -v34
	v_fmamk_f16 v41, v20, 0xb08e, v35
	v_fma_f16 v35, v20, 0xb08e, -v35
	v_pk_add_f16 v0, v0, v19
	v_pk_add_f16 v39, v16, v39
	v_bfi_b32 v46, 0xffff, v38, v31
	v_lshrrev_b32_e32 v47, 16, v28
	v_fmamk_f16 v42, v26, 0x3beb, v36
	v_pk_add_f16 v0, v0, v2
	v_add_f16_e32 v2, v16, v43
	v_add_f16_e32 v43, v27, v44
	;; [unrolled: 1-line block ×4, first 2 shown]
	v_pk_add_f16 v44, v0, v3
	v_add_f16_e32 v0, v16, v45
	v_mul_f16_e32 v3, 0xba0c, v32
	v_mul_f16_e32 v45, 0x3482, v32
	v_add_f16_e32 v41, v16, v41
	v_add_f16_e32 v35, v16, v35
	v_pk_add_f16 v39, v46, v39
	v_fmamk_f16 v48, v28, 0xb93d, v3
	v_fma_f16 v3, v28, 0xb93d, -v3
	v_fmamk_f16 v49, v28, 0xbbad, v45
	v_mul_f16_e32 v46, 0xbbad, v47
	v_fma_f16 v45, v28, 0xbbad, -v45
	v_fmac_f16_e32 v36, 0xbbeb, v26
	v_fma_f16 v37, v20, 0xb93d, -v37
	v_fmac_f16_e32 v30, 0xba0c, v26
	v_add_f16_e32 v42, v27, v42
	v_add_f16_e32 v40, v48, v40
	;; [unrolled: 1-line block ×4, first 2 shown]
	v_mul_f16_e32 v41, 0x3beb, v32
	v_fmamk_f16 v48, v29, 0xb482, v46
	v_mul_f16_e32 v47, 0xb08e, v47
	v_add_f16_e32 v35, v45, v35
	v_pk_add_f16 v45, v4, v19 neg_lo:[0,1] neg_hi:[0,1]
	v_add_f16_e32 v36, v27, v36
	v_add_f16_e32 v37, v16, v37
	;; [unrolled: 1-line block ×3, first 2 shown]
	v_fmac_f16_e32 v46, 0x3482, v29
	v_fmamk_f16 v49, v28, 0xb08e, v41
	v_add_f16_e32 v42, v48, v42
	v_fmamk_f16 v48, v29, 0xbbeb, v47
	v_fma_f16 v41, v28, 0xb08e, -v41
	v_fmac_f16_e32 v47, 0x3beb, v29
	v_mul_f16_e32 v32, 0x3853, v32
	v_pk_add_f16 v4, v19, v4
	v_pk_mul_f16 v19, 0xbbeb, v45 op_sel_hi:[0,1]
	v_add_f16_e32 v36, v46, v36
	v_add_f16_e32 v37, v41, v37
	;; [unrolled: 1-line block ×3, first 2 shown]
	v_fmamk_f16 v41, v28, 0x3abb, v32
	v_lshrrev_b32_e32 v46, 16, v45
	v_pk_fma_f16 v47, 0xb08e, v4, v19 op_sel:[0,0,1] op_sel_hi:[0,1,0]
	v_pk_fma_f16 v19, 0xb08e, v4, v19 op_sel:[0,0,1] op_sel_hi:[0,1,0] neg_lo:[0,0,1] neg_hi:[0,0,1]
	v_fma_f16 v14, v20, 0xbbad, -v14
	v_add_f16_e32 v2, v49, v2
	v_add_f16_e32 v43, v48, v43
	;; [unrolled: 1-line block ×3, first 2 shown]
	v_mul_f16_e32 v41, 0x3482, v46
	v_bfi_b32 v48, 0xffff, v47, v19
	v_lshrrev_b32_e32 v49, 16, v4
	v_add_f16_e32 v14, v16, v14
	v_fma_f16 v32, v28, 0x3abb, -v32
	v_fmamk_f16 v50, v4, 0xbbad, v41
	v_pk_add_f16 v39, v48, v39
	v_mul_f16_e32 v48, 0x36a6, v49
	v_fma_f16 v41, v4, 0xbbad, -v41
	v_add_f16_e32 v14, v32, v14
	v_mul_f16_e32 v32, 0x3b47, v46
	v_add_f16_e32 v40, v50, v40
	v_fmamk_f16 v50, v45, 0xbb47, v48
	v_mul_f16_e32 v49, 0x3abb, v49
	v_add_f16_e32 v3, v41, v3
	v_fmamk_f16 v51, v4, 0x36a6, v32
	v_mul_f16_e32 v41, 0xb853, v46
	v_fma_f16 v32, v4, 0x36a6, -v32
	v_fmac_f16_e32 v48, 0x3b47, v45
	v_add_f16_e32 v42, v50, v42
	v_fmamk_f16 v50, v45, 0x3853, v49
	v_add_f16_e32 v34, v51, v34
	v_fmamk_f16 v51, v4, 0x3abb, v41
	v_add_f16_e32 v32, v32, v35
	v_add_f16_e32 v35, v48, v36
	v_fma_f16 v36, v4, 0x3abb, -v41
	v_add_f16_e32 v41, v50, v43
	v_pk_add_f16 v43, v5, v18 neg_lo:[0,1] neg_hi:[0,1]
	v_fmac_f16_e32 v49, 0xb853, v45
	v_mul_f16_e32 v46, 0xba0c, v46
	v_pk_add_f16 v5, v18, v5
	v_add_f16_e32 v36, v36, v37
	v_pk_mul_f16 v18, 0xba0c, v43 op_sel_hi:[0,1]
	v_add_f16_e32 v30, v49, v30
	v_fmamk_f16 v37, v4, 0xb93d, v46
	v_lshrrev_b32_e32 v48, 16, v43
	v_fma_f16 v46, v4, 0xb93d, -v46
	v_pk_fma_f16 v49, 0xb93d, v5, v18 op_sel:[0,0,1] op_sel_hi:[0,1,0]
	v_pk_fma_f16 v50, 0xb93d, v5, v18 op_sel:[0,0,1] op_sel_hi:[0,1,0] neg_lo:[0,0,1] neg_hi:[0,0,1]
	v_add_f16_e32 v2, v51, v2
	v_mul_f16_e32 v18, 0x3beb, v48
	v_add_f16_e32 v14, v46, v14
	v_lshrrev_b32_e32 v51, 16, v5
	v_bfi_b32 v46, 0xffff, v49, v50
	v_add_f16_e32 v0, v37, v0
	v_fmamk_f16 v52, v5, 0xb08e, v18
	v_mul_f16_e32 v37, 0xb853, v48
	v_fma_f16 v18, v5, 0xb08e, -v18
	v_pk_add_f16 v39, v46, v39
	v_mul_f16_e32 v46, 0x3abb, v51
	v_add_f16_e32 v40, v52, v40
	v_mul_f16_e32 v51, 0xbbad, v51
	v_fmamk_f16 v53, v5, 0x3abb, v37
	v_fma_f16 v37, v5, 0x3abb, -v37
	v_fmamk_f16 v52, v43, 0x3853, v46
	v_add_f16_e32 v3, v18, v3
	v_fmac_f16_e32 v46, 0xb853, v43
	v_add_f16_e32 v18, v53, v34
	v_mul_f16_e32 v34, 0xb482, v48
	v_add_f16_e32 v42, v52, v42
	v_fmamk_f16 v52, v43, 0x3482, v51
	v_add_f16_e32 v32, v37, v32
	v_add_f16_e32 v35, v46, v35
	v_fmamk_f16 v53, v5, 0xbbad, v34
	v_fma_f16 v34, v5, 0xbbad, -v34
	v_add_f16_e32 v37, v52, v41
	v_pk_add_f16 v41, v6, v7 neg_lo:[0,1] neg_hi:[0,1]
	v_fmac_f16_e32 v51, 0xb482, v43
	v_mul_f16_e32 v46, 0x3b47, v48
	v_pk_add_f16 v6, v7, v6
	v_add_f16_e32 v34, v34, v36
	v_pk_mul_f16 v7, 0xb482, v41 op_sel_hi:[0,1]
	v_add_f16_e32 v30, v51, v30
	v_fmamk_f16 v36, v5, 0x36a6, v46
	v_lshrrev_b32_e32 v48, 16, v41
	v_fma_f16 v46, v5, 0x36a6, -v46
	v_pk_fma_f16 v51, 0xbbad, v6, v7 op_sel:[0,0,1] op_sel_hi:[0,1,0]
	v_pk_fma_f16 v7, 0xbbad, v6, v7 op_sel:[0,0,1] op_sel_hi:[0,1,0] neg_lo:[0,0,1] neg_hi:[0,0,1]
	v_add_f16_e32 v2, v53, v2
	v_add_f16_e32 v36, v36, v0
	v_mul_f16_e32 v0, 0x3853, v48
	v_add_f16_e32 v46, v46, v14
	v_mul_f16_e32 v14, 0xba0c, v48
	v_bfi_b32 v52, 0xffff, v51, v7
	v_lshrrev_b32_e32 v53, 16, v6
	v_fmamk_f16 v54, v6, 0x3abb, v0
	v_fma_f16 v0, v6, 0x3abb, -v0
	v_fmamk_f16 v55, v6, 0xb93d, v14
	v_pk_add_f16 v39, v52, v39
	v_mul_f16_e32 v52, 0xb93d, v53
	v_add_f16_e32 v40, v54, v40
	v_add_f16_e32 v0, v0, v3
	;; [unrolled: 1-line block ×3, first 2 shown]
	v_mul_f16_e32 v18, 0x3b47, v48
	v_fmamk_f16 v3, v41, 0x3a0c, v52
	v_fma_f16 v14, v6, 0xb93d, -v14
	v_mul_f16_e32 v53, 0x36a6, v53
	v_fmac_f16_e32 v52, 0xba0c, v41
	v_fmamk_f16 v55, v6, 0x36a6, v18
	v_add_f16_e32 v42, v3, v42
	v_add_f16_e32 v3, v14, v32
	v_fmamk_f16 v32, v41, 0xbb47, v53
	v_mul_f16_e32 v48, 0xbbeb, v48
	v_pk_mul_f16 v20, 0xbbad36a6, v20 op_sel:[0,1]
	v_add_f16_e32 v14, v52, v35
	v_add_f16_e32 v35, v55, v2
	v_add_f16_e32 v32, v32, v37
	v_fma_f16 v2, v6, 0x36a6, -v18
	v_fmac_f16_e32 v53, 0x3b47, v41
	v_fmamk_f16 v37, v6, 0xb08e, v48
	v_pk_fma_f16 v52, 0xb482bb47, v26, v20 op_sel_hi:[1,0,1]
	v_pk_mul_f16 v28, 0x3abbb93d, v28 op_sel:[0,1]
	v_add_f16_e32 v2, v2, v34
	v_add_f16_e32 v18, v53, v30
	;; [unrolled: 1-line block ×3, first 2 shown]
	v_pk_add_f16 v34, v16, v52 op_sel:[1,0]
	v_pk_fma_f16 v36, 0x3853ba0c, v29, v28 op_sel_hi:[1,0,1]
	v_pk_fma_f16 v20, 0xb482bb47, v26, v20 op_sel_hi:[1,0,1] neg_lo:[0,1,0] neg_hi:[0,1,0]
	v_pk_mul_f16 v4, 0xb93dbbad, v4 op_sel:[0,1]
	v_pk_fma_f16 v28, 0x3853ba0c, v29, v28 op_sel_hi:[1,0,1] neg_lo:[0,1,0] neg_hi:[0,1,0]
	v_pk_mul_f16 v5, 0x36a6b08e, v5 op_sel:[0,1]
	v_pk_add_f16 v29, v36, v34
	v_lshrrev_b32_e32 v34, 16, v20
	v_pk_fma_f16 v36, 0xba0c3482, v45, v4 op_sel_hi:[1,0,1] neg_lo:[0,1,0] neg_hi:[0,1,0]
	v_pk_fma_f16 v4, 0xba0c3482, v45, v4 op_sel_hi:[1,0,1]
	v_add_f16_e32 v20, v27, v20
	v_fma_f16 v26, v6, 0xb08e, -v48
	v_add_f16_e32 v27, v27, v34
	v_lshrrev_b32_e32 v34, 16, v28
	v_pk_add_f16 v4, v4, v29
	v_pk_fma_f16 v29, 0x3b473beb, v43, v5 op_sel_hi:[1,0,1]
	v_pk_fma_f16 v5, 0x3b473beb, v43, v5 op_sel_hi:[1,0,1] neg_lo:[0,1,0] neg_hi:[0,1,0]
	v_add_f16_e32 v20, v28, v20
	v_add_f16_e32 v27, v34, v27
	v_lshrrev_b32_e32 v28, 16, v36
	v_pk_mul_f16 v6, 0xb08e3abb, v6 op_sel:[0,1]
	v_bfi_b32 v1, 0xffff, v1, v33
	v_pk_add_f16 v4, v29, v4
	v_add_f16_e32 v20, v36, v20
	v_add_f16_e32 v27, v28, v27
	v_lshrrev_b32_e32 v28, 16, v5
	v_pk_fma_f16 v29, 0xbbeb3853, v41, v6 op_sel_hi:[1,0,1] neg_lo:[0,1,0] neg_hi:[0,1,0]
	v_pk_add_f16 v1, v16, v1
	v_bfi_b32 v16, 0xffff, v31, v38
	v_add_f16_e32 v5, v5, v20
	v_add_f16_e32 v20, v28, v27
	v_lshrrev_b32_e32 v27, 16, v29
	v_pk_fma_f16 v6, 0xbbeb3853, v41, v6 op_sel_hi:[1,0,1]
	v_pk_add_f16 v1, v16, v1
	v_bfi_b32 v16, 0xffff, v19, v47
	v_add_f16_e32 v19, v26, v46
	v_add_f16_e32 v26, v27, v20
	v_pk_add_f16 v20, v6, v4
	v_bfi_b32 v4, 0xffff, v50, v49
	v_pk_add_f16 v1, v16, v1
	v_add_f16_e32 v5, v29, v5
	v_pack_b32_f16 v6, v54, v42
	v_pack_b32_f16 v16, v30, v26
	;; [unrolled: 1-line block ×3, first 2 shown]
	v_pk_add_f16 v1, v4, v1
	v_bfi_b32 v4, 0xffff, v7, v51
	v_pack_b32_f16 v5, v40, v5
	v_bfi_b32 v7, 0xffff, v19, v20
	v_pack_b32_f16 v27, v2, v18
	v_pack_b32_f16 v28, v0, v20
	;; [unrolled: 1-line block ×3, first 2 shown]
	v_pk_add_f16 v1, v4, v1
	ds_store_2addr_b32 v22, v44, v39 offset1:1
	ds_store_2addr_b32 v22, v5, v6 offset0:2 offset1:3
	ds_store_2addr_b32 v22, v26, v16 offset0:4 offset1:5
	;; [unrolled: 1-line block ×4, first 2 shown]
	ds_store_b32 v22, v1 offset:40
	global_wb scope:SCOPE_SE
	s_wait_dscnt 0x0
	s_barrier_signal -1
	s_barrier_wait -1
	global_inv scope:SCOPE_SE
	ds_load_2addr_b32 v[6:7], v9 offset0:121 offset1:242
	ds_load_2addr_b32 v[4:5], v21 offset0:107 offset1:228
	ds_load_b32 v27, v23
	ds_load_b32 v28, v9 offset:2420
	v_lshrrev_b32_e32 v22, 16, v1
	v_lshlrev_b32_e32 v16, 2, v12
                                        ; implicit-def: $vgpr26
                                        ; implicit-def: $vgpr21
	s_and_saveexec_b32 s1, s0
	s_cbranch_execz .LBB0_15
; %bb.14:
	s_delay_alu instid0(VALU_DEP_1)
	v_add3_u32 v0, 0, v16, v15
	ds_load_b32 v19, v0
	ds_load_2addr_b32 v[0:1], v17 offset0:45 offset1:166
	ds_load_2addr_b32 v[2:3], v13 offset0:59 offset1:180
	ds_load_b32 v21, v9 offset:2684
	s_wait_dscnt 0x3
	v_mov_b32_e32 v20, v19
	s_wait_dscnt 0x2
	v_lshrrev_b32_e32 v22, 16, v1
	s_wait_dscnt 0x1
	v_lshrrev_b32_e32 v18, 16, v2
	s_wait_dscnt 0x0
	v_lshrrev_b32_e32 v26, 16, v21
	v_lshrrev_b32_e32 v14, 16, v3
	ds_load_u16_d16 v20, v9 offset:1718
.LBB0_15:
	s_wait_alu 0xfffe
	s_or_b32 exec_lo, exec_lo, s1
	v_and_b32_e32 v13, 0xff, v8
	s_wait_dscnt 0x3
	v_lshrrev_b32_e32 v35, 16, v6
	s_wait_dscnt 0x2
	v_lshrrev_b32_e32 v37, 16, v4
	;; [unrolled: 2-line block ×3, first 2 shown]
	v_lshrrev_b32_e32 v36, 16, v7
	v_mul_lo_u16 v13, 0x75, v13
	v_lshrrev_b32_e32 v38, 16, v5
	v_lshrrev_b32_e32 v34, 16, v27
	s_delay_alu instid0(VALU_DEP_3) | instskip(NEXT) | instid1(VALU_DEP_1)
	v_lshrrev_b16 v13, 8, v13
	v_sub_nc_u16 v17, v8, v13
	s_delay_alu instid0(VALU_DEP_1) | instskip(NEXT) | instid1(VALU_DEP_1)
	v_lshrrev_b16 v17, 1, v17
	v_and_b32_e32 v17, 0x7f, v17
	s_delay_alu instid0(VALU_DEP_1) | instskip(NEXT) | instid1(VALU_DEP_1)
	v_add_nc_u16 v13, v17, v13
	v_lshrrev_b16 v13, 3, v13
	s_delay_alu instid0(VALU_DEP_1) | instskip(SKIP_1) | instid1(VALU_DEP_2)
	v_mul_lo_u16 v17, v13, 11
	v_and_b32_e32 v13, 0xffff, v13
	v_sub_nc_u16 v17, v8, v17
	s_delay_alu instid0(VALU_DEP_2) | instskip(NEXT) | instid1(VALU_DEP_2)
	v_mad_u32_u24 v13, 0x108, v13, 0
	v_and_b32_e32 v17, 0xff, v17
	s_delay_alu instid0(VALU_DEP_1) | instskip(SKIP_1) | instid1(VALU_DEP_2)
	v_mul_u32_u24_e32 v29, 5, v17
	v_lshlrev_b32_e32 v17, 2, v17
	v_lshlrev_b32_e32 v33, 2, v29
	s_delay_alu instid0(VALU_DEP_2)
	v_add3_u32 v13, v13, v17, v15
	s_clause 0x1
	global_load_b128 v[29:32], v33, s[4:5]
	global_load_b32 v33, v33, s[4:5] offset:16
	global_wb scope:SCOPE_SE
	s_wait_loadcnt 0x0
	s_barrier_signal -1
	s_barrier_wait -1
	global_inv scope:SCOPE_SE
	v_lshrrev_b32_e32 v17, 16, v29
	v_lshrrev_b32_e32 v41, 16, v31
	;; [unrolled: 1-line block ×5, first 2 shown]
	v_mul_f16_e32 v44, v17, v35
	v_mul_f16_e32 v17, v17, v6
	v_mul_f16_e32 v46, v41, v37
	v_mul_f16_e32 v41, v41, v4
	v_mul_f16_e32 v48, v43, v39
	v_mul_f16_e32 v43, v43, v28
	v_mul_f16_e32 v45, v40, v36
	v_mul_f16_e32 v40, v40, v7
	v_mul_f16_e32 v47, v42, v38
	v_mul_f16_e32 v42, v42, v5
	v_fmac_f16_e32 v44, v29, v6
	v_fma_f16 v6, v29, v35, -v17
	v_fmac_f16_e32 v46, v31, v4
	v_fma_f16 v4, v31, v37, -v41
	v_fma_f16 v17, v33, v39, -v43
	v_fmac_f16_e32 v45, v30, v7
	v_fma_f16 v7, v30, v36, -v40
	v_fmac_f16_e32 v47, v32, v5
	;; [unrolled: 2-line block ×3, first 2 shown]
	v_sub_f16_e32 v36, v4, v17
	v_add_f16_e32 v37, v6, v4
	v_add_f16_e32 v4, v4, v17
	;; [unrolled: 1-line block ×4, first 2 shown]
	v_sub_f16_e32 v30, v7, v5
	v_add_f16_e32 v31, v34, v7
	v_add_f16_e32 v7, v7, v5
	v_add_f16_e32 v33, v44, v46
	v_add_f16_e32 v35, v46, v48
	v_sub_f16_e32 v38, v46, v48
	v_fmac_f16_e32 v6, -0.5, v4
	v_sub_f16_e32 v32, v45, v47
	v_add_f16_e32 v28, v28, v47
	v_fmac_f16_e32 v27, -0.5, v29
	v_add_f16_e32 v5, v31, v5
	v_fmac_f16_e32 v34, -0.5, v7
	;; [unrolled: 2-line block ×3, first 2 shown]
	v_fmamk_f16 v31, v38, 0x3aee, v6
	v_fmac_f16_e32 v6, 0xbaee, v38
	v_add_f16_e32 v17, v37, v17
	v_fmamk_f16 v4, v30, 0xbaee, v27
	v_fmac_f16_e32 v27, 0x3aee, v30
	v_fmamk_f16 v29, v32, 0x3aee, v34
	v_fmac_f16_e32 v34, 0xbaee, v32
	v_fmamk_f16 v30, v36, 0xbaee, v44
	v_add_f16_e32 v32, v28, v7
	v_sub_f16_e32 v7, v28, v7
	v_mul_f16_e32 v28, 0xbaee, v31
	v_mul_f16_e32 v31, 0.5, v31
	v_fmac_f16_e32 v44, 0x3aee, v36
	v_mul_f16_e32 v35, 0xbaee, v6
	v_mul_f16_e32 v6, -0.5, v6
	v_add_f16_e32 v33, v5, v17
	v_fmac_f16_e32 v28, 0.5, v30
	v_fmac_f16_e32 v31, 0x3aee, v30
	v_fmac_f16_e32 v35, -0.5, v44
	v_fmac_f16_e32 v6, 0x3aee, v44
	v_sub_f16_e32 v5, v5, v17
	v_pack_b32_f16 v17, v32, v33
	v_add_f16_e32 v30, v4, v28
	v_add_f16_e32 v33, v29, v31
	;; [unrolled: 1-line block ×4, first 2 shown]
	v_sub_f16_e32 v4, v4, v28
	v_sub_f16_e32 v27, v27, v35
	;; [unrolled: 1-line block ×4, first 2 shown]
	v_pack_b32_f16 v5, v7, v5
	v_pack_b32_f16 v7, v30, v33
	v_pack_b32_f16 v29, v32, v36
	v_pack_b32_f16 v4, v4, v28
	v_pack_b32_f16 v6, v27, v6
	ds_store_2addr_b32 v13, v17, v7 offset1:11
	ds_store_2addr_b32 v13, v29, v5 offset0:22 offset1:33
	ds_store_2addr_b32 v13, v4, v6 offset0:44 offset1:55
	s_and_saveexec_b32 s1, s0
	s_cbranch_execz .LBB0_17
; %bb.16:
	v_and_b32_e32 v4, 0xff, v12
	v_lshrrev_b32_e32 v28, 16, v20
	s_delay_alu instid0(VALU_DEP_2) | instskip(NEXT) | instid1(VALU_DEP_1)
	v_mul_lo_u16 v4, 0x75, v4
	v_lshrrev_b16 v4, 8, v4
	s_delay_alu instid0(VALU_DEP_1) | instskip(NEXT) | instid1(VALU_DEP_1)
	v_sub_nc_u16 v5, v12, v4
	v_lshrrev_b16 v5, 1, v5
	s_delay_alu instid0(VALU_DEP_1) | instskip(NEXT) | instid1(VALU_DEP_1)
	v_and_b32_e32 v5, 0x7f, v5
	v_add_nc_u16 v4, v5, v4
	s_delay_alu instid0(VALU_DEP_1) | instskip(NEXT) | instid1(VALU_DEP_1)
	v_lshrrev_b16 v13, 3, v4
	v_mul_lo_u16 v4, v13, 11
	v_and_b32_e32 v13, 0xffff, v13
	s_delay_alu instid0(VALU_DEP_2) | instskip(NEXT) | instid1(VALU_DEP_2)
	v_sub_nc_u16 v4, v12, v4
	v_mad_u32_u24 v13, 0x108, v13, 0
	s_delay_alu instid0(VALU_DEP_2) | instskip(NEXT) | instid1(VALU_DEP_1)
	v_and_b32_e32 v17, 0xff, v4
	v_mul_u32_u24_e32 v4, 5, v17
	v_lshlrev_b32_e32 v17, 2, v17
	s_delay_alu instid0(VALU_DEP_2) | instskip(NEXT) | instid1(VALU_DEP_2)
	v_lshlrev_b32_e32 v27, 2, v4
	v_add3_u32 v13, v13, v17, v15
	s_clause 0x1
	global_load_b128 v[4:7], v27, s[4:5]
	global_load_b32 v27, v27, s[4:5] offset:16
	s_wait_loadcnt 0x1
	v_lshrrev_b32_e32 v29, 16, v7
	v_lshrrev_b32_e32 v31, 16, v6
	s_wait_loadcnt 0x0
	v_lshrrev_b32_e32 v32, 16, v27
	v_lshrrev_b32_e32 v17, 16, v5
	;; [unrolled: 1-line block ×3, first 2 shown]
	v_mul_f16_e32 v34, v1, v29
	v_mul_f16_e32 v29, v22, v29
	;; [unrolled: 1-line block ×9, first 2 shown]
	v_fmac_f16_e32 v29, v1, v7
	v_fmac_f16_e32 v36, v0, v6
	v_fma_f16 v0, v20, v6, -v31
	v_fma_f16 v1, v26, v27, -v32
	v_mul_f16_e32 v17, v14, v17
	v_fma_f16 v14, v14, v5, -v33
	v_fma_f16 v22, v22, v7, -v34
	v_fmac_f16_e32 v35, v2, v4
	v_fmac_f16_e32 v37, v21, v27
	v_fma_f16 v2, v18, v4, -v30
	v_add_f16_e32 v7, v0, v1
	v_fmac_f16_e32 v17, v3, v5
	v_sub_f16_e32 v6, v0, v1
	v_add_f16_e32 v5, v36, v37
	v_sub_f16_e32 v18, v36, v37
	v_add_f16_e32 v20, v28, v14
	v_add_f16_e32 v0, v2, v0
	v_fma_f16 v2, -0.5, v7, v2
	v_add_f16_e32 v3, v14, v22
	v_sub_f16_e32 v4, v17, v29
	v_add_f16_e32 v21, v17, v29
	v_add_f16_e32 v17, v19, v17
	;; [unrolled: 1-line block ×3, first 2 shown]
	v_sub_f16_e32 v14, v14, v22
	v_fma_f16 v5, -0.5, v5, v35
	v_add_f16_e32 v7, v20, v22
	v_fmamk_f16 v22, v18, 0xbaee, v2
	v_fmac_f16_e32 v2, 0x3aee, v18
	v_fma_f16 v3, -0.5, v3, v28
	v_add_f16_e32 v0, v0, v1
	v_fma_f16 v1, -0.5, v21, v19
	v_add_f16_e32 v17, v17, v29
	v_add_f16_e32 v19, v26, v37
	v_fmamk_f16 v21, v6, 0x3aee, v5
	v_fmac_f16_e32 v5, 0xbaee, v6
	v_mul_f16_e32 v18, 0.5, v2
	v_mul_f16_e32 v2, 0xbaee, v2
	v_fmamk_f16 v20, v4, 0xbaee, v3
	v_fmac_f16_e32 v3, 0x3aee, v4
	v_sub_f16_e32 v4, v7, v0
	v_fmamk_f16 v6, v14, 0x3aee, v1
	v_fmac_f16_e32 v1, 0xbaee, v14
	v_sub_f16_e32 v14, v17, v19
	v_add_f16_e32 v0, v7, v0
	v_mul_f16_e32 v7, -0.5, v22
	v_add_f16_e32 v17, v17, v19
	v_mul_f16_e32 v19, 0xbaee, v22
	v_fmac_f16_e32 v18, 0x3aee, v5
	v_fmac_f16_e32 v2, 0.5, v5
	v_fmac_f16_e32 v7, 0x3aee, v21
	v_pack_b32_f16 v0, v17, v0
	v_fmac_f16_e32 v19, -0.5, v21
	v_sub_f16_e32 v17, v3, v18
	v_add_f16_e32 v3, v3, v18
	v_add_f16_e32 v18, v1, v2
	v_sub_f16_e32 v5, v20, v7
	v_add_f16_e32 v7, v20, v7
	v_add_f16_e32 v20, v6, v19
	v_sub_f16_e32 v1, v1, v2
	v_sub_f16_e32 v2, v6, v19
	v_pack_b32_f16 v3, v18, v3
	v_pack_b32_f16 v4, v14, v4
	;; [unrolled: 1-line block ×5, first 2 shown]
	ds_store_2addr_b32 v13, v0, v3 offset1:11
	ds_store_2addr_b32 v13, v6, v4 offset0:22 offset1:33
	ds_store_2addr_b32 v13, v1, v2 offset0:44 offset1:55
.LBB0_17:
	s_wait_alu 0xfffe
	s_or_b32 exec_lo, exec_lo, s1
	v_mul_u32_u24_e32 v0, 10, v8
	global_wb scope:SCOPE_SE
	s_wait_dscnt 0x0
	s_barrier_signal -1
	s_barrier_wait -1
	global_inv scope:SCOPE_SE
	v_lshlrev_b32_e32 v13, 2, v0
	v_add_nc_u32_e32 v26, 0x400, v9
	v_add_nc_u32_e32 v27, 0x800, v9
	v_add3_u32 v21, 0, v16, v15
	s_mov_b32 s1, exec_lo
	s_clause 0x2
	global_load_b128 v[0:3], v13, s[4:5] offset:220
	global_load_b128 v[4:7], v13, s[4:5] offset:236
	global_load_b64 v[13:14], v13, s[4:5] offset:252
	ds_load_2addr_b32 v[19:20], v9 offset0:132 offset1:198
	ds_load_b32 v28, v23
	ds_load_b32 v29, v9 offset:2640
	ds_load_2addr_b32 v[17:18], v26 offset0:140 offset1:206
	ds_load_2addr_b32 v[15:16], v27 offset0:16 offset1:82
	ds_load_b32 v31, v21
	ds_load_2addr_b32 v[21:22], v26 offset0:8 offset1:74
	ds_load_u16 v30, v9 offset:1322
	global_wb scope:SCOPE_SE
	s_wait_loadcnt_dscnt 0x0
	s_barrier_signal -1
	s_barrier_wait -1
	global_inv scope:SCOPE_SE
	v_lshrrev_b32_e32 v35, 16, v29
	v_lshrrev_b32_e32 v36, 16, v17
	;; [unrolled: 1-line block ×15, first 2 shown]
	v_mul_f16_e32 v52, v42, v40
	v_mul_f16_e32 v42, v42, v31
	v_lshrrev_b32_e32 v44, 16, v2
	v_lshrrev_b32_e32 v45, 16, v3
	v_mul_f16_e32 v53, v43, v32
	v_mul_f16_e32 v43, v43, v19
	;; [unrolled: 1-line block ×5, first 2 shown]
	v_fmac_f16_e32 v52, v0, v31
	v_fma_f16 v0, v0, v40, -v42
	v_lshrrev_b32_e32 v46, 16, v4
	v_lshrrev_b32_e32 v47, 16, v5
	;; [unrolled: 1-line block ×3, first 2 shown]
	v_mul_f16_e32 v61, v35, v51
	v_mul_f16_e32 v51, v29, v51
	;; [unrolled: 1-line block ×6, first 2 shown]
	v_fmac_f16_e32 v53, v1, v19
	v_fma_f16 v1, v1, v32, -v43
	v_fmac_f16_e32 v59, v15, v7
	v_fmac_f16_e32 v60, v16, v13
	v_fma_f16 v13, v39, v13, -v50
	v_add_f16_e32 v15, v52, v28
	v_add_f16_e32 v16, v0, v34
	v_mul_f16_e32 v45, v45, v21
	v_mul_f16_e32 v56, v30, v46
	;; [unrolled: 1-line block ×7, first 2 shown]
	v_fmac_f16_e32 v61, v29, v14
	v_fma_f16 v14, v35, v14, -v51
	v_fmac_f16_e32 v54, v2, v20
	v_fma_f16 v2, v2, v33, -v44
	v_fmac_f16_e32 v55, v3, v21
	v_add_f16_e32 v21, v1, v13
	v_sub_f16_e32 v29, v1, v13
	v_add_f16_e32 v15, v15, v53
	v_add_f16_e32 v1, v16, v1
	v_fma_f16 v3, v3, v41, -v45
	v_fmac_f16_e32 v56, v4, v22
	v_fma_f16 v4, v30, v4, -v46
	v_fmac_f16_e32 v57, v17, v5
	v_fma_f16 v5, v36, v5, -v47
	v_fmac_f16_e32 v58, v18, v6
	v_fma_f16 v6, v37, v6, -v48
	v_fma_f16 v7, v38, v7, -v49
	v_add_f16_e32 v18, v0, v14
	v_sub_f16_e32 v0, v0, v14
	v_add_f16_e32 v15, v15, v54
	v_add_f16_e32 v1, v1, v2
	;; [unrolled: 1-line block ×3, first 2 shown]
	v_sub_f16_e32 v19, v52, v61
	v_add_f16_e32 v31, v2, v7
	v_sub_f16_e32 v33, v2, v7
	v_sub_f16_e32 v36, v3, v6
	v_add_f16_e32 v37, v3, v6
	v_sub_f16_e32 v39, v4, v5
	v_add_f16_e32 v41, v4, v5
	v_mul_f16_e32 v16, 0xb853, v0
	v_mul_f16_e32 v43, 0x3abb, v18
	;; [unrolled: 1-line block ×10, first 2 shown]
	v_add_f16_e32 v15, v15, v55
	v_add_f16_e32 v1, v1, v3
	;; [unrolled: 1-line block ×3, first 2 shown]
	v_sub_f16_e32 v22, v53, v60
	v_add_f16_e32 v30, v54, v59
	v_sub_f16_e32 v32, v54, v59
	v_add_f16_e32 v35, v55, v58
	;; [unrolled: 2-line block ×3, first 2 shown]
	v_sub_f16_e32 v42, v56, v57
	v_mul_f16_e32 v50, 0xbb47, v29
	v_mul_f16_e32 v51, 0x36a6, v21
	;; [unrolled: 1-line block ×40, first 2 shown]
	v_fmamk_f16 v2, v17, 0x3abb, v16
	v_fmamk_f16 v54, v19, 0x3853, v43
	v_fma_f16 v16, v17, 0x3abb, -v16
	v_fmac_f16_e32 v43, 0xb853, v19
	v_fmamk_f16 v90, v17, 0x36a6, v44
	v_fmamk_f16 v91, v19, 0x3b47, v45
	v_fma_f16 v44, v17, 0x36a6, -v44
	v_fmac_f16_e32 v45, 0xbb47, v19
	;; [unrolled: 4-line block ×5, first 2 shown]
	v_add_f16_e32 v15, v15, v56
	v_add_f16_e32 v1, v1, v4
	v_fmamk_f16 v17, v20, 0x36a6, v50
	v_fmamk_f16 v19, v22, 0x3b47, v51
	v_fma_f16 v50, v20, 0x36a6, -v50
	v_fmac_f16_e32 v51, 0xbb47, v22
	v_fmamk_f16 v98, v20, 0xb93d, v52
	v_fmamk_f16 v99, v22, 0x3a0c, v53
	v_fma_f16 v52, v20, 0xb93d, -v52
	v_fmac_f16_e32 v53, 0xba0c, v22
	;; [unrolled: 4-line block ×9, first 2 shown]
	v_fmamk_f16 v112, v30, 0xb93d, v33
	v_fma_f16 v30, v30, 0xb93d, -v33
	v_fmamk_f16 v33, v32, 0x3a0c, v31
	v_fmac_f16_e32 v31, 0xba0c, v32
	v_fmamk_f16 v32, v35, 0xb93d, v74
	v_fma_f16 v74, v35, 0xb93d, -v74
	v_fmamk_f16 v113, v35, 0xb08e, v75
	v_fma_f16 v75, v35, 0xb08e, -v75
	;; [unrolled: 2-line block ×5, first 2 shown]
	v_fmamk_f16 v36, v38, 0x3a0c, v78
	v_fmac_f16_e32 v78, 0xba0c, v38
	v_fmamk_f16 v117, v38, 0xbbeb, v79
	v_fmac_f16_e32 v79, 0x3beb, v38
	;; [unrolled: 2-line block ×5, first 2 shown]
	v_fmamk_f16 v38, v40, 0xbbad, v82
	v_fma_f16 v82, v40, 0xbbad, -v82
	v_fmamk_f16 v121, v40, 0x3abb, v83
	v_fma_f16 v83, v40, 0x3abb, -v83
	v_fmamk_f16 v122, v40, 0xb93d, v84
	v_fma_f16 v84, v40, 0xb93d, -v84
	v_fmamk_f16 v123, v40, 0x36a6, v85
	v_fma_f16 v85, v40, 0x36a6, -v85
	v_fmamk_f16 v124, v40, 0xb08e, v39
	v_fma_f16 v39, v40, 0xb08e, -v39
	v_fmamk_f16 v40, v42, 0x3482, v86
	v_fmac_f16_e32 v86, 0xb482, v42
	v_fmamk_f16 v125, v42, 0xb853, v87
	v_fmac_f16_e32 v87, 0x3853, v42
	;; [unrolled: 2-line block ×4, first 2 shown]
	v_fma_f16 v128, 0x3beb, v42, v41
	v_fmac_f16_e32 v41, 0xbbeb, v42
	v_add_f16_e32 v2, v2, v28
	v_add_f16_e32 v3, v16, v28
	;; [unrolled: 1-line block ×103, first 2 shown]
	v_add_f16_e64 v33, v128, v33
	v_add_f16_e32 v0, v39, v0
	v_add_f16_e32 v18, v41, v18
	;; [unrolled: 1-line block ×6, first 2 shown]
	v_pack_b32_f16 v2, v2, v4
	v_pack_b32_f16 v4, v6, v7
	;; [unrolled: 1-line block ×11, first 2 shown]
	ds_store_2addr_b32 v9, v4, v6 offset0:132 offset1:198
	ds_store_2addr_b32 v26, v7, v13 offset0:8 offset1:74
	;; [unrolled: 1-line block ×4, first 2 shown]
	ds_store_b32 v9, v3 offset:2640
	ds_store_2addr_b32 v9, v1, v2 offset1:66
	global_wb scope:SCOPE_SE
	s_wait_dscnt 0x0
	s_barrier_signal -1
	s_barrier_wait -1
	global_inv scope:SCOPE_SE
	ds_load_b32 v2, v23
	v_sub_nc_u32_e32 v4, v24, v25
                                        ; implicit-def: $vgpr7
                                        ; implicit-def: $vgpr5
                                        ; implicit-def: $vgpr6
                                        ; implicit-def: $vgpr0_vgpr1
	s_wait_dscnt 0x0
	v_lshrrev_b32_e32 v3, 16, v2
	v_cmpx_ne_u32_e32 0, v8
	s_wait_alu 0xfffe
	s_xor_b32 s1, exec_lo, s1
	s_cbranch_execz .LBB0_19
; %bb.18:
	v_mov_b32_e32 v9, 0
	s_delay_alu instid0(VALU_DEP_1) | instskip(NEXT) | instid1(VALU_DEP_1)
	v_lshlrev_b64_e32 v[0:1], 2, v[8:9]
	v_add_co_u32 v0, s0, s4, v0
	s_wait_alu 0xf1ff
	s_delay_alu instid0(VALU_DEP_2)
	v_add_co_ci_u32_e64 v1, s0, s5, v1, s0
	global_load_b32 v0, v[0:1], off offset:2860
	ds_load_b32 v1, v4 offset:2904
	s_wait_dscnt 0x0
	v_lshrrev_b32_e32 v5, 16, v1
	v_sub_f16_e32 v6, v2, v1
	v_add_f16_e32 v1, v1, v2
	s_delay_alu instid0(VALU_DEP_3) | instskip(SKIP_1) | instid1(VALU_DEP_4)
	v_add_f16_e32 v7, v5, v3
	v_sub_f16_e32 v3, v3, v5
	v_mul_f16_e32 v13, 0.5, v6
	s_delay_alu instid0(VALU_DEP_3) | instskip(NEXT) | instid1(VALU_DEP_3)
	v_mul_f16_e32 v2, 0.5, v7
	v_mul_f16_e32 v3, 0.5, v3
	s_wait_loadcnt 0x0
	v_lshrrev_b32_e32 v5, 16, v0
	s_delay_alu instid0(VALU_DEP_1) | instskip(NEXT) | instid1(VALU_DEP_3)
	v_mul_f16_e32 v6, v5, v13
	v_fma_f16 v7, v2, v5, v3
	v_fma_f16 v3, v2, v5, -v3
	s_delay_alu instid0(VALU_DEP_3) | instskip(SKIP_1) | instid1(VALU_DEP_4)
	v_fma_f16 v14, 0.5, v1, v6
	v_fma_f16 v1, v1, 0.5, -v6
	v_fma_f16 v6, -v0, v13, v7
	s_delay_alu instid0(VALU_DEP_4) | instskip(NEXT) | instid1(VALU_DEP_4)
	v_fma_f16 v7, -v0, v13, v3
                                        ; implicit-def: $vgpr3
	v_fmac_f16_e32 v14, v0, v2
	s_delay_alu instid0(VALU_DEP_4)
	v_fma_f16 v5, -v0, v2, v1
	v_dual_mov_b32 v0, v8 :: v_dual_mov_b32 v1, v9
                                        ; implicit-def: $vgpr2
	ds_store_b16 v23, v14
.LBB0_19:
	s_wait_alu 0xfffe
	s_and_not1_saveexec_b32 s0, s1
	s_cbranch_execz .LBB0_21
; %bb.20:
	ds_load_u16 v6, v24 offset:1454
	v_dual_mov_b32 v0, 0 :: v_dual_mov_b32 v7, 0
	v_add_f16_e32 v9, v3, v2
	v_sub_f16_e32 v5, v2, v3
	v_mov_b32_e32 v1, 0
	s_wait_dscnt 0x0
	v_xor_b32_e32 v2, 0x8000, v6
	v_mov_b32_e32 v6, 0
	ds_store_b16 v23, v9
	ds_store_b16 v24, v2 offset:1454
.LBB0_21:
	s_wait_alu 0xfffe
	s_or_b32 exec_lo, exec_lo, s0
	v_mov_b32_e32 v13, 0
	v_lshlrev_b64_e32 v[0:1], 2, v[0:1]
	v_perm_b32 v5, v7, v5, 0x5040100
	v_lshl_add_u32 v7, v12, 2, v24
	s_delay_alu instid0(VALU_DEP_4) | instskip(NEXT) | instid1(VALU_DEP_1)
	v_lshlrev_b64_e32 v[2:3], 2, v[12:13]
	v_add_co_u32 v2, s0, s4, v2
	s_wait_alu 0xf1ff
	s_delay_alu instid0(VALU_DEP_2)
	v_add_co_ci_u32_e64 v3, s0, s5, v3, s0
	s_add_nc_u64 s[0:1], s[4:5], 0xb2c
	global_load_b32 v9, v[2:3], off offset:2860
	s_wait_alu 0xfffe
	v_add_co_u32 v2, s0, s0, v0
	s_wait_alu 0xf1ff
	v_add_co_ci_u32_e64 v3, s0, s1, v1, s0
	s_mov_b32 s1, exec_lo
	s_clause 0x2
	global_load_b32 v13, v[2:3], off offset:528
	global_load_b32 v14, v[2:3], off offset:792
	global_load_b32 v15, v[2:3], off offset:1056
	ds_store_b16 v23, v6 offset:2
	ds_store_b32 v4, v5 offset:2904
	ds_load_b32 v6, v4 offset:2640
	ds_load_b32 v5, v7
	s_wait_dscnt 0x0
	v_pk_add_f16 v12, v5, v6 neg_lo:[0,1] neg_hi:[0,1]
	v_pk_add_f16 v5, v5, v6
	s_delay_alu instid0(VALU_DEP_1) | instskip(SKIP_1) | instid1(VALU_DEP_2)
	v_bfi_b32 v6, 0xffff, v12, v5
	v_bfi_b32 v5, 0xffff, v5, v12
	v_pk_mul_f16 v6, v6, 0.5 op_sel_hi:[1,0]
	s_delay_alu instid0(VALU_DEP_2) | instskip(SKIP_1) | instid1(VALU_DEP_1)
	v_pk_mul_f16 v5, v5, 0.5 op_sel_hi:[1,0]
	s_wait_loadcnt 0x3
	v_pk_fma_f16 v12, v9, v6, v5 op_sel:[1,0,0]
	v_pk_mul_f16 v16, v9, v6 op_sel_hi:[0,1]
	v_pk_fma_f16 v17, v9, v6, v5 op_sel:[1,0,0] neg_lo:[1,0,0] neg_hi:[1,0,0]
	v_pk_fma_f16 v5, v9, v6, v5 op_sel:[1,0,0] neg_lo:[0,0,1] neg_hi:[0,0,1]
	s_delay_alu instid0(VALU_DEP_3) | instskip(SKIP_1) | instid1(VALU_DEP_4)
	v_pk_add_f16 v6, v12, v16 op_sel:[0,1] op_sel_hi:[1,0]
	v_pk_add_f16 v9, v12, v16 op_sel:[0,1] op_sel_hi:[1,0] neg_lo:[0,1] neg_hi:[0,1]
	v_pk_add_f16 v12, v17, v16 op_sel:[0,1] op_sel_hi:[1,0] neg_lo:[0,1] neg_hi:[0,1]
	s_delay_alu instid0(VALU_DEP_4) | instskip(NEXT) | instid1(VALU_DEP_3)
	v_pk_add_f16 v5, v5, v16 op_sel:[0,1] op_sel_hi:[1,0] neg_lo:[0,1] neg_hi:[0,1]
	v_bfi_b32 v6, 0xffff, v6, v9
	s_delay_alu instid0(VALU_DEP_2)
	v_bfi_b32 v5, 0xffff, v12, v5
	ds_store_b32 v7, v6
	ds_store_b32 v4, v5 offset:2640
	ds_load_b32 v5, v23 offset:528
	ds_load_b32 v6, v4 offset:2376
	s_wait_dscnt 0x0
	v_pk_add_f16 v7, v5, v6 neg_lo:[0,1] neg_hi:[0,1]
	v_pk_add_f16 v5, v5, v6
	s_delay_alu instid0(VALU_DEP_1) | instskip(SKIP_1) | instid1(VALU_DEP_2)
	v_bfi_b32 v6, 0xffff, v7, v5
	v_bfi_b32 v5, 0xffff, v5, v7
	v_pk_mul_f16 v6, v6, 0.5 op_sel_hi:[1,0]
	s_delay_alu instid0(VALU_DEP_2) | instskip(SKIP_1) | instid1(VALU_DEP_2)
	v_pk_mul_f16 v5, v5, 0.5 op_sel_hi:[1,0]
	s_wait_loadcnt 0x2
	v_pk_mul_f16 v9, v13, v6 op_sel_hi:[0,1]
	s_delay_alu instid0(VALU_DEP_2) | instskip(SKIP_2) | instid1(VALU_DEP_3)
	v_pk_fma_f16 v7, v13, v6, v5 op_sel:[1,0,0]
	v_pk_fma_f16 v12, v13, v6, v5 op_sel:[1,0,0] neg_lo:[1,0,0] neg_hi:[1,0,0]
	v_pk_fma_f16 v5, v13, v6, v5 op_sel:[1,0,0] neg_lo:[0,0,1] neg_hi:[0,0,1]
	v_pk_add_f16 v6, v7, v9 op_sel:[0,1] op_sel_hi:[1,0]
	v_pk_add_f16 v7, v7, v9 op_sel:[0,1] op_sel_hi:[1,0] neg_lo:[0,1] neg_hi:[0,1]
	s_delay_alu instid0(VALU_DEP_4) | instskip(NEXT) | instid1(VALU_DEP_4)
	v_pk_add_f16 v12, v12, v9 op_sel:[0,1] op_sel_hi:[1,0] neg_lo:[0,1] neg_hi:[0,1]
	v_pk_add_f16 v5, v5, v9 op_sel:[0,1] op_sel_hi:[1,0] neg_lo:[0,1] neg_hi:[0,1]
	s_delay_alu instid0(VALU_DEP_3) | instskip(NEXT) | instid1(VALU_DEP_2)
	v_bfi_b32 v6, 0xffff, v6, v7
	v_bfi_b32 v5, 0xffff, v12, v5
	ds_store_b32 v23, v6 offset:528
	ds_store_b32 v4, v5 offset:2376
	ds_load_b32 v5, v23 offset:792
	ds_load_b32 v6, v4 offset:2112
	s_wait_dscnt 0x0
	v_pk_add_f16 v7, v5, v6 neg_lo:[0,1] neg_hi:[0,1]
	v_pk_add_f16 v5, v5, v6
	s_delay_alu instid0(VALU_DEP_1) | instskip(SKIP_1) | instid1(VALU_DEP_2)
	v_bfi_b32 v6, 0xffff, v7, v5
	v_bfi_b32 v5, 0xffff, v5, v7
	v_pk_mul_f16 v6, v6, 0.5 op_sel_hi:[1,0]
	s_delay_alu instid0(VALU_DEP_2) | instskip(SKIP_1) | instid1(VALU_DEP_2)
	v_pk_mul_f16 v5, v5, 0.5 op_sel_hi:[1,0]
	s_wait_loadcnt 0x1
	v_pk_mul_f16 v9, v14, v6 op_sel_hi:[0,1]
	s_delay_alu instid0(VALU_DEP_2) | instskip(SKIP_2) | instid1(VALU_DEP_3)
	v_pk_fma_f16 v7, v14, v6, v5 op_sel:[1,0,0]
	v_pk_fma_f16 v12, v14, v6, v5 op_sel:[1,0,0] neg_lo:[1,0,0] neg_hi:[1,0,0]
	v_pk_fma_f16 v5, v14, v6, v5 op_sel:[1,0,0] neg_lo:[0,0,1] neg_hi:[0,0,1]
	v_pk_add_f16 v6, v7, v9 op_sel:[0,1] op_sel_hi:[1,0]
	v_pk_add_f16 v7, v7, v9 op_sel:[0,1] op_sel_hi:[1,0] neg_lo:[0,1] neg_hi:[0,1]
	s_delay_alu instid0(VALU_DEP_4) | instskip(NEXT) | instid1(VALU_DEP_4)
	v_pk_add_f16 v12, v12, v9 op_sel:[0,1] op_sel_hi:[1,0] neg_lo:[0,1] neg_hi:[0,1]
	v_pk_add_f16 v5, v5, v9 op_sel:[0,1] op_sel_hi:[1,0] neg_lo:[0,1] neg_hi:[0,1]
	s_delay_alu instid0(VALU_DEP_3) | instskip(NEXT) | instid1(VALU_DEP_2)
	v_bfi_b32 v6, 0xffff, v6, v7
	v_bfi_b32 v5, 0xffff, v12, v5
	ds_store_b32 v23, v6 offset:792
	;; [unrolled: 27-line block ×3, first 2 shown]
	ds_store_b32 v4, v5 offset:1848
	v_cmpx_gt_u32_e32 33, v8
	s_cbranch_execz .LBB0_23
; %bb.22:
	global_load_b32 v2, v[2:3], off offset:1320
	ds_load_b32 v3, v23 offset:1320
	ds_load_b32 v5, v4 offset:1584
	s_wait_dscnt 0x0
	v_pk_add_f16 v6, v3, v5 neg_lo:[0,1] neg_hi:[0,1]
	v_pk_add_f16 v3, v3, v5
	s_delay_alu instid0(VALU_DEP_1) | instskip(SKIP_1) | instid1(VALU_DEP_2)
	v_bfi_b32 v5, 0xffff, v6, v3
	v_bfi_b32 v3, 0xffff, v3, v6
	v_pk_mul_f16 v5, v5, 0.5 op_sel_hi:[1,0]
	s_delay_alu instid0(VALU_DEP_2) | instskip(SKIP_1) | instid1(VALU_DEP_1)
	v_pk_mul_f16 v3, v3, 0.5 op_sel_hi:[1,0]
	s_wait_loadcnt 0x0
	v_pk_fma_f16 v6, v2, v5, v3 op_sel:[1,0,0]
	v_pk_mul_f16 v7, v2, v5 op_sel_hi:[0,1]
	v_pk_fma_f16 v9, v2, v5, v3 op_sel:[1,0,0] neg_lo:[1,0,0] neg_hi:[1,0,0]
	v_pk_fma_f16 v2, v2, v5, v3 op_sel:[1,0,0] neg_lo:[0,0,1] neg_hi:[0,0,1]
	s_delay_alu instid0(VALU_DEP_3) | instskip(SKIP_1) | instid1(VALU_DEP_4)
	v_pk_add_f16 v3, v6, v7 op_sel:[0,1] op_sel_hi:[1,0]
	v_pk_add_f16 v5, v6, v7 op_sel:[0,1] op_sel_hi:[1,0] neg_lo:[0,1] neg_hi:[0,1]
	v_pk_add_f16 v6, v9, v7 op_sel:[0,1] op_sel_hi:[1,0] neg_lo:[0,1] neg_hi:[0,1]
	s_delay_alu instid0(VALU_DEP_4) | instskip(NEXT) | instid1(VALU_DEP_3)
	v_pk_add_f16 v2, v2, v7 op_sel:[0,1] op_sel_hi:[1,0] neg_lo:[0,1] neg_hi:[0,1]
	v_bfi_b32 v3, 0xffff, v3, v5
	s_delay_alu instid0(VALU_DEP_2)
	v_bfi_b32 v2, 0xffff, v6, v2
	ds_store_b32 v23, v3 offset:1320
	ds_store_b32 v4, v2 offset:1584
.LBB0_23:
	s_wait_alu 0xfffe
	s_or_b32 exec_lo, exec_lo, s1
	global_wb scope:SCOPE_SE
	s_wait_dscnt 0x0
	s_barrier_signal -1
	s_barrier_wait -1
	global_inv scope:SCOPE_SE
	s_and_saveexec_b32 s0, vcc_lo
	s_cbranch_execz .LBB0_26
; %bb.24:
	v_add_nc_u32_e32 v2, 0x400, v23
	v_add_nc_u32_e32 v3, 0x800, v23
	ds_load_2addr_b32 v[4:5], v23 offset1:66
	ds_load_2addr_b32 v[6:7], v23 offset0:132 offset1:198
	ds_load_b32 v9, v23 offset:2640
	ds_load_2addr_b32 v[12:13], v2 offset0:8 offset1:74
	ds_load_2addr_b32 v[14:15], v2 offset0:140 offset1:206
	;; [unrolled: 1-line block ×3, first 2 shown]
	v_add_co_u32 v2, vcc_lo, s8, v10
	s_wait_alu 0xfffd
	v_add_co_ci_u32_e32 v3, vcc_lo, s9, v11, vcc_lo
	s_delay_alu instid0(VALU_DEP_2) | instskip(SKIP_1) | instid1(VALU_DEP_2)
	v_add_co_u32 v0, vcc_lo, v2, v0
	s_wait_alu 0xfffd
	v_add_co_ci_u32_e32 v1, vcc_lo, v3, v1, vcc_lo
	v_cmp_eq_u32_e32 vcc_lo, 0x41, v8
	s_wait_dscnt 0x5
	s_clause 0x1
	global_store_b32 v[0:1], v4, off
	global_store_b32 v[0:1], v5, off offset:264
	s_wait_dscnt 0x4
	s_clause 0x1
	global_store_b32 v[0:1], v6, off offset:528
	global_store_b32 v[0:1], v7, off offset:792
	s_wait_dscnt 0x2
	s_clause 0x1
	global_store_b32 v[0:1], v12, off offset:1056
	;; [unrolled: 4-line block ×4, first 2 shown]
	global_store_b32 v[0:1], v17, off offset:2376
	global_store_b32 v[0:1], v9, off offset:2640
	s_and_b32 exec_lo, exec_lo, vcc_lo
	s_cbranch_execz .LBB0_26
; %bb.25:
	ds_load_b32 v0, v23 offset:2644
	s_wait_dscnt 0x0
	global_store_b32 v[2:3], v0, off offset:2904
.LBB0_26:
	s_nop 0
	s_sendmsg sendmsg(MSG_DEALLOC_VGPRS)
	s_endpgm
	.section	.rodata,"a",@progbits
	.p2align	6, 0x0
	.amdhsa_kernel fft_rtc_back_len726_factors_11_6_11_wgs_132_tpt_66_half_ip_CI_unitstride_sbrr_R2C_dirReg
		.amdhsa_group_segment_fixed_size 0
		.amdhsa_private_segment_fixed_size 0
		.amdhsa_kernarg_size 88
		.amdhsa_user_sgpr_count 2
		.amdhsa_user_sgpr_dispatch_ptr 0
		.amdhsa_user_sgpr_queue_ptr 0
		.amdhsa_user_sgpr_kernarg_segment_ptr 1
		.amdhsa_user_sgpr_dispatch_id 0
		.amdhsa_user_sgpr_private_segment_size 0
		.amdhsa_wavefront_size32 1
		.amdhsa_uses_dynamic_stack 0
		.amdhsa_enable_private_segment 0
		.amdhsa_system_sgpr_workgroup_id_x 1
		.amdhsa_system_sgpr_workgroup_id_y 0
		.amdhsa_system_sgpr_workgroup_id_z 0
		.amdhsa_system_sgpr_workgroup_info 0
		.amdhsa_system_vgpr_workitem_id 0
		.amdhsa_next_free_vgpr 129
		.amdhsa_next_free_sgpr 32
		.amdhsa_reserve_vcc 1
		.amdhsa_float_round_mode_32 0
		.amdhsa_float_round_mode_16_64 0
		.amdhsa_float_denorm_mode_32 3
		.amdhsa_float_denorm_mode_16_64 3
		.amdhsa_fp16_overflow 0
		.amdhsa_workgroup_processor_mode 1
		.amdhsa_memory_ordered 1
		.amdhsa_forward_progress 0
		.amdhsa_round_robin_scheduling 0
		.amdhsa_exception_fp_ieee_invalid_op 0
		.amdhsa_exception_fp_denorm_src 0
		.amdhsa_exception_fp_ieee_div_zero 0
		.amdhsa_exception_fp_ieee_overflow 0
		.amdhsa_exception_fp_ieee_underflow 0
		.amdhsa_exception_fp_ieee_inexact 0
		.amdhsa_exception_int_div_zero 0
	.end_amdhsa_kernel
	.text
.Lfunc_end0:
	.size	fft_rtc_back_len726_factors_11_6_11_wgs_132_tpt_66_half_ip_CI_unitstride_sbrr_R2C_dirReg, .Lfunc_end0-fft_rtc_back_len726_factors_11_6_11_wgs_132_tpt_66_half_ip_CI_unitstride_sbrr_R2C_dirReg
                                        ; -- End function
	.section	.AMDGPU.csdata,"",@progbits
; Kernel info:
; codeLenInByte = 9840
; NumSgprs: 34
; NumVgprs: 129
; ScratchSize: 0
; MemoryBound: 0
; FloatMode: 240
; IeeeMode: 1
; LDSByteSize: 0 bytes/workgroup (compile time only)
; SGPRBlocks: 4
; VGPRBlocks: 16
; NumSGPRsForWavesPerEU: 34
; NumVGPRsForWavesPerEU: 129
; Occupancy: 10
; WaveLimiterHint : 1
; COMPUTE_PGM_RSRC2:SCRATCH_EN: 0
; COMPUTE_PGM_RSRC2:USER_SGPR: 2
; COMPUTE_PGM_RSRC2:TRAP_HANDLER: 0
; COMPUTE_PGM_RSRC2:TGID_X_EN: 1
; COMPUTE_PGM_RSRC2:TGID_Y_EN: 0
; COMPUTE_PGM_RSRC2:TGID_Z_EN: 0
; COMPUTE_PGM_RSRC2:TIDIG_COMP_CNT: 0
	.text
	.p2alignl 7, 3214868480
	.fill 96, 4, 3214868480
	.type	__hip_cuid_1981d750aa1d3612,@object ; @__hip_cuid_1981d750aa1d3612
	.section	.bss,"aw",@nobits
	.globl	__hip_cuid_1981d750aa1d3612
__hip_cuid_1981d750aa1d3612:
	.byte	0                               ; 0x0
	.size	__hip_cuid_1981d750aa1d3612, 1

	.ident	"AMD clang version 19.0.0git (https://github.com/RadeonOpenCompute/llvm-project roc-6.4.0 25133 c7fe45cf4b819c5991fe208aaa96edf142730f1d)"
	.section	".note.GNU-stack","",@progbits
	.addrsig
	.addrsig_sym __hip_cuid_1981d750aa1d3612
	.amdgpu_metadata
---
amdhsa.kernels:
  - .args:
      - .actual_access:  read_only
        .address_space:  global
        .offset:         0
        .size:           8
        .value_kind:     global_buffer
      - .offset:         8
        .size:           8
        .value_kind:     by_value
      - .actual_access:  read_only
        .address_space:  global
        .offset:         16
        .size:           8
        .value_kind:     global_buffer
      - .actual_access:  read_only
        .address_space:  global
        .offset:         24
        .size:           8
        .value_kind:     global_buffer
      - .offset:         32
        .size:           8
        .value_kind:     by_value
      - .actual_access:  read_only
        .address_space:  global
        .offset:         40
        .size:           8
        .value_kind:     global_buffer
      - .actual_access:  read_only
        .address_space:  global
        .offset:         48
        .size:           8
        .value_kind:     global_buffer
      - .offset:         56
        .size:           4
        .value_kind:     by_value
      - .actual_access:  read_only
        .address_space:  global
        .offset:         64
        .size:           8
        .value_kind:     global_buffer
      - .actual_access:  read_only
        .address_space:  global
        .offset:         72
        .size:           8
        .value_kind:     global_buffer
      - .address_space:  global
        .offset:         80
        .size:           8
        .value_kind:     global_buffer
    .group_segment_fixed_size: 0
    .kernarg_segment_align: 8
    .kernarg_segment_size: 88
    .language:       OpenCL C
    .language_version:
      - 2
      - 0
    .max_flat_workgroup_size: 132
    .name:           fft_rtc_back_len726_factors_11_6_11_wgs_132_tpt_66_half_ip_CI_unitstride_sbrr_R2C_dirReg
    .private_segment_fixed_size: 0
    .sgpr_count:     34
    .sgpr_spill_count: 0
    .symbol:         fft_rtc_back_len726_factors_11_6_11_wgs_132_tpt_66_half_ip_CI_unitstride_sbrr_R2C_dirReg.kd
    .uniform_work_group_size: 1
    .uses_dynamic_stack: false
    .vgpr_count:     129
    .vgpr_spill_count: 0
    .wavefront_size: 32
    .workgroup_processor_mode: 1
amdhsa.target:   amdgcn-amd-amdhsa--gfx1201
amdhsa.version:
  - 1
  - 2
...

	.end_amdgpu_metadata
